;; amdgpu-corpus repo=zjin-lcf/HeCBench kind=compiled arch=gfx906 opt=O3
	.amdgcn_target "amdgcn-amd-amdhsa--gfx906"
	.amdhsa_code_object_version 6
	.text
	.protected	_Z7viterbiPKfS0_S0_PiPfS1_ii ; -- Begin function _Z7viterbiPKfS0_S0_PiPfS1_ii
	.globl	_Z7viterbiPKfS0_S0_PiPfS1_ii
	.p2align	8
	.type	_Z7viterbiPKfS0_S0_PiPfS1_ii,@function
_Z7viterbiPKfS0_S0_PiPfS1_ii:           ; @_Z7viterbiPKfS0_S0_PiPfS1_ii
; %bb.0:
	s_load_dword s0, s[4:5], 0x44
	s_load_dwordx2 s[16:17], s[4:5], 0x30
	s_waitcnt lgkmcnt(0)
	s_and_b32 s0, s0, 0xffff
	s_mul_i32 s6, s6, s0
	v_add_u32_e32 v0, s6, v0
	v_cmp_gt_i32_e32 vcc, s16, v0
	s_and_saveexec_b64 s[0:1], vcc
	s_cbranch_execz .LBB0_6
; %bb.1:
	s_load_dwordx8 s[8:15], s[4:5], 0x10
	s_cmp_lt_i32 s16, 1
	s_cbranch_scc1 .LBB0_4
; %bb.2:
	v_mul_lo_u32 v1, v0, s16
	s_load_dwordx4 s[0:3], s[4:5], 0x0
	v_mov_b32_e32 v4, 0
	v_ashrrev_i32_e32 v2, 31, v1
	v_lshlrev_b64 v[1:2], 2, v[1:2]
	s_waitcnt lgkmcnt(0)
	v_mov_b32_e32 v3, s3
	v_add_co_u32_e32 v1, vcc, s2, v1
	v_addc_co_u32_e32 v2, vcc, v3, v2, vcc
	v_mov_b32_e32 v3, -1
	s_mov_b32 s2, 0
.LBB0_3:                                ; =>This Inner Loop Header: Depth=1
	global_load_dword v5, v[1:2], off
	s_load_dword s3, s[0:1], 0x0
	v_mov_b32_e32 v6, s2
	s_add_i32 s2, s2, 1
	v_add_co_u32_e32 v1, vcc, 4, v1
	v_addc_co_u32_e32 v2, vcc, 0, v2, vcc
	s_add_u32 s0, s0, 4
	s_addc_u32 s1, s1, 0
	s_cmp_eq_u32 s16, s2
	s_waitcnt vmcnt(0) lgkmcnt(0)
	v_add_f32_e32 v5, s3, v5
	v_cmp_gt_f32_e32 vcc, v5, v4
	v_cndmask_b32_e32 v3, v3, v6, vcc
	v_cndmask_b32_e32 v4, v4, v5, vcc
	s_cbranch_scc0 .LBB0_3
	s_branch .LBB0_5
.LBB0_4:
	v_mov_b32_e32 v3, -1
	v_mov_b32_e32 v4, 0
.LBB0_5:
	s_ashr_i32 s1, s17, 31
	s_mov_b32 s0, s17
	s_lshl_b64 s[0:1], s[0:1], 2
	s_waitcnt lgkmcnt(0)
	s_add_u32 s0, s10, s0
	s_addc_u32 s1, s11, s1
	s_load_dword s0, s[0:1], 0x0
	v_mov_b32_e32 v5, s9
	v_mov_b32_e32 v8, s15
	s_waitcnt lgkmcnt(0)
	s_mul_i32 s0, s0, s16
	v_add_u32_e32 v1, s0, v0
	v_ashrrev_i32_e32 v2, 31, v1
	v_lshlrev_b64 v[1:2], 2, v[1:2]
	s_add_i32 s0, s17, -1
	v_add_co_u32_e32 v1, vcc, s8, v1
	v_addc_co_u32_e32 v2, vcc, v5, v2, vcc
	global_load_dword v7, v[1:2], off
	v_ashrrev_i32_e32 v1, 31, v0
	v_lshlrev_b64 v[1:2], 2, v[0:1]
	v_mov_b32_e32 v5, s13
	v_add_co_u32_e32 v1, vcc, s12, v1
	s_mul_i32 s0, s0, s16
	v_addc_co_u32_e32 v2, vcc, v5, v2, vcc
	v_add_u32_e32 v5, s0, v0
	v_ashrrev_i32_e32 v6, 31, v5
	v_lshlrev_b64 v[5:6], 2, v[5:6]
	v_add_co_u32_e32 v5, vcc, s14, v5
	v_addc_co_u32_e32 v6, vcc, v8, v6, vcc
	s_waitcnt vmcnt(0)
	v_add_f32_e32 v0, v4, v7
	global_store_dword v[1:2], v0, off
	global_store_dword v[5:6], v3, off
.LBB0_6:
	s_endpgm
	.section	.rodata,"a",@progbits
	.p2align	6, 0x0
	.amdhsa_kernel _Z7viterbiPKfS0_S0_PiPfS1_ii
		.amdhsa_group_segment_fixed_size 0
		.amdhsa_private_segment_fixed_size 0
		.amdhsa_kernarg_size 312
		.amdhsa_user_sgpr_count 6
		.amdhsa_user_sgpr_private_segment_buffer 1
		.amdhsa_user_sgpr_dispatch_ptr 0
		.amdhsa_user_sgpr_queue_ptr 0
		.amdhsa_user_sgpr_kernarg_segment_ptr 1
		.amdhsa_user_sgpr_dispatch_id 0
		.amdhsa_user_sgpr_flat_scratch_init 0
		.amdhsa_user_sgpr_private_segment_size 0
		.amdhsa_uses_dynamic_stack 0
		.amdhsa_system_sgpr_private_segment_wavefront_offset 0
		.amdhsa_system_sgpr_workgroup_id_x 1
		.amdhsa_system_sgpr_workgroup_id_y 0
		.amdhsa_system_sgpr_workgroup_id_z 0
		.amdhsa_system_sgpr_workgroup_info 0
		.amdhsa_system_vgpr_workitem_id 0
		.amdhsa_next_free_vgpr 9
		.amdhsa_next_free_sgpr 18
		.amdhsa_reserve_vcc 1
		.amdhsa_reserve_flat_scratch 0
		.amdhsa_float_round_mode_32 0
		.amdhsa_float_round_mode_16_64 0
		.amdhsa_float_denorm_mode_32 3
		.amdhsa_float_denorm_mode_16_64 3
		.amdhsa_dx10_clamp 1
		.amdhsa_ieee_mode 1
		.amdhsa_fp16_overflow 0
		.amdhsa_exception_fp_ieee_invalid_op 0
		.amdhsa_exception_fp_denorm_src 0
		.amdhsa_exception_fp_ieee_div_zero 0
		.amdhsa_exception_fp_ieee_overflow 0
		.amdhsa_exception_fp_ieee_underflow 0
		.amdhsa_exception_fp_ieee_inexact 0
		.amdhsa_exception_int_div_zero 0
	.end_amdhsa_kernel
	.text
.Lfunc_end0:
	.size	_Z7viterbiPKfS0_S0_PiPfS1_ii, .Lfunc_end0-_Z7viterbiPKfS0_S0_PiPfS1_ii
                                        ; -- End function
	.set _Z7viterbiPKfS0_S0_PiPfS1_ii.num_vgpr, 9
	.set _Z7viterbiPKfS0_S0_PiPfS1_ii.num_agpr, 0
	.set _Z7viterbiPKfS0_S0_PiPfS1_ii.numbered_sgpr, 18
	.set _Z7viterbiPKfS0_S0_PiPfS1_ii.num_named_barrier, 0
	.set _Z7viterbiPKfS0_S0_PiPfS1_ii.private_seg_size, 0
	.set _Z7viterbiPKfS0_S0_PiPfS1_ii.uses_vcc, 1
	.set _Z7viterbiPKfS0_S0_PiPfS1_ii.uses_flat_scratch, 0
	.set _Z7viterbiPKfS0_S0_PiPfS1_ii.has_dyn_sized_stack, 0
	.set _Z7viterbiPKfS0_S0_PiPfS1_ii.has_recursion, 0
	.set _Z7viterbiPKfS0_S0_PiPfS1_ii.has_indirect_call, 0
	.section	.AMDGPU.csdata,"",@progbits
; Kernel info:
; codeLenInByte = 364
; TotalNumSgprs: 22
; NumVgprs: 9
; ScratchSize: 0
; MemoryBound: 0
; FloatMode: 240
; IeeeMode: 1
; LDSByteSize: 0 bytes/workgroup (compile time only)
; SGPRBlocks: 2
; VGPRBlocks: 2
; NumSGPRsForWavesPerEU: 22
; NumVGPRsForWavesPerEU: 9
; Occupancy: 10
; WaveLimiterHint : 1
; COMPUTE_PGM_RSRC2:SCRATCH_EN: 0
; COMPUTE_PGM_RSRC2:USER_SGPR: 6
; COMPUTE_PGM_RSRC2:TRAP_HANDLER: 0
; COMPUTE_PGM_RSRC2:TGID_X_EN: 1
; COMPUTE_PGM_RSRC2:TGID_Y_EN: 0
; COMPUTE_PGM_RSRC2:TGID_Z_EN: 0
; COMPUTE_PGM_RSRC2:TIDIG_COMP_CNT: 0
	.section	.AMDGPU.gpr_maximums,"",@progbits
	.set amdgpu.max_num_vgpr, 0
	.set amdgpu.max_num_agpr, 0
	.set amdgpu.max_num_sgpr, 0
	.section	.AMDGPU.csdata,"",@progbits
	.type	__hip_cuid_bc759c935b88d7fe,@object ; @__hip_cuid_bc759c935b88d7fe
	.section	.bss,"aw",@nobits
	.globl	__hip_cuid_bc759c935b88d7fe
__hip_cuid_bc759c935b88d7fe:
	.byte	0                               ; 0x0
	.size	__hip_cuid_bc759c935b88d7fe, 1

	.ident	"AMD clang version 22.0.0git (https://github.com/RadeonOpenCompute/llvm-project roc-7.2.4 26084 f58b06dce1f9c15707c5f808fd002e18c2accf7e)"
	.section	".note.GNU-stack","",@progbits
	.addrsig
	.addrsig_sym __hip_cuid_bc759c935b88d7fe
	.amdgpu_metadata
---
amdhsa.kernels:
  - .args:
      - .actual_access:  read_only
        .address_space:  global
        .offset:         0
        .size:           8
        .value_kind:     global_buffer
      - .actual_access:  read_only
        .address_space:  global
        .offset:         8
        .size:           8
        .value_kind:     global_buffer
      - .actual_access:  read_only
        .address_space:  global
        .offset:         16
        .size:           8
        .value_kind:     global_buffer
      - .actual_access:  read_only
        .address_space:  global
        .offset:         24
        .size:           8
        .value_kind:     global_buffer
      - .actual_access:  write_only
        .address_space:  global
        .offset:         32
        .size:           8
        .value_kind:     global_buffer
      - .actual_access:  write_only
        .address_space:  global
        .offset:         40
        .size:           8
        .value_kind:     global_buffer
      - .offset:         48
        .size:           4
        .value_kind:     by_value
      - .offset:         52
        .size:           4
        .value_kind:     by_value
      - .offset:         56
        .size:           4
        .value_kind:     hidden_block_count_x
      - .offset:         60
        .size:           4
        .value_kind:     hidden_block_count_y
      - .offset:         64
        .size:           4
        .value_kind:     hidden_block_count_z
      - .offset:         68
        .size:           2
        .value_kind:     hidden_group_size_x
      - .offset:         70
        .size:           2
        .value_kind:     hidden_group_size_y
      - .offset:         72
        .size:           2
        .value_kind:     hidden_group_size_z
      - .offset:         74
        .size:           2
        .value_kind:     hidden_remainder_x
      - .offset:         76
        .size:           2
        .value_kind:     hidden_remainder_y
      - .offset:         78
        .size:           2
        .value_kind:     hidden_remainder_z
      - .offset:         96
        .size:           8
        .value_kind:     hidden_global_offset_x
      - .offset:         104
        .size:           8
        .value_kind:     hidden_global_offset_y
      - .offset:         112
        .size:           8
        .value_kind:     hidden_global_offset_z
      - .offset:         120
        .size:           2
        .value_kind:     hidden_grid_dims
    .group_segment_fixed_size: 0
    .kernarg_segment_align: 8
    .kernarg_segment_size: 312
    .language:       OpenCL C
    .language_version:
      - 2
      - 0
    .max_flat_workgroup_size: 1024
    .name:           _Z7viterbiPKfS0_S0_PiPfS1_ii
    .private_segment_fixed_size: 0
    .sgpr_count:     22
    .sgpr_spill_count: 0
    .symbol:         _Z7viterbiPKfS0_S0_PiPfS1_ii.kd
    .uniform_work_group_size: 1
    .uses_dynamic_stack: false
    .vgpr_count:     9
    .vgpr_spill_count: 0
    .wavefront_size: 64
amdhsa.target:   amdgcn-amd-amdhsa--gfx906
amdhsa.version:
  - 1
  - 2
...

	.end_amdgpu_metadata
